;; amdgpu-corpus repo=ROCm/rocFFT kind=compiled arch=gfx950 opt=O3
	.text
	.amdgcn_target "amdgcn-amd-amdhsa--gfx950"
	.amdhsa_code_object_version 6
	.protected	bluestein_single_back_len448_dim1_sp_op_CI_CI ; -- Begin function bluestein_single_back_len448_dim1_sp_op_CI_CI
	.globl	bluestein_single_back_len448_dim1_sp_op_CI_CI
	.p2align	8
	.type	bluestein_single_back_len448_dim1_sp_op_CI_CI,@function
bluestein_single_back_len448_dim1_sp_op_CI_CI: ; @bluestein_single_back_len448_dim1_sp_op_CI_CI
; %bb.0:
	s_load_dwordx4 s[8:11], s[0:1], 0x28
	v_lshrrev_b32_e32 v1, 6, v0
	v_lshl_or_b32 v36, s2, 1, v1
	v_mov_b32_e32 v37, 0
	s_waitcnt lgkmcnt(0)
	v_cmp_gt_u64_e32 vcc, s[8:9], v[36:37]
	s_and_saveexec_b64 s[2:3], vcc
	s_cbranch_execz .LBB0_25
; %bb.1:
	s_load_dwordx2 s[8:9], s[0:1], 0x0
	s_load_dwordx2 s[12:13], s[0:1], 0x38
	v_and_b32_e32 v1, 1, v1
	v_and_b32_e32 v37, 63, v0
	v_mov_b32_e32 v0, 0x1c0
	v_cmp_eq_u32_e32 vcc, 1, v1
	v_cmp_lt_u32_e64 s[2:3], 55, v37
	v_lshlrev_b32_e32 v52, 3, v37
	v_cndmask_b32_e32 v53, 0, v0, vcc
	v_cmp_gt_u32_e32 vcc, 56, v37
	v_or_b32_e32 v26, v53, v37
	s_and_saveexec_b64 s[14:15], vcc
	s_cbranch_execz .LBB0_3
; %bb.2:
	s_load_dwordx2 s[4:5], s[0:1], 0x18
	v_mov_b32_e32 v2, s10
	v_mov_b32_e32 v3, s11
	v_lshlrev_b32_e32 v27, 3, v26
	v_lshl_add_u32 v38, v53, 3, v52
	s_waitcnt lgkmcnt(0)
	s_load_dwordx4 s[4:7], s[4:5], 0x0
	v_add_u32_e32 v39, 0x800, v38
	s_waitcnt lgkmcnt(0)
	v_mad_u64_u32 v[4:5], s[10:11], s6, v36, 0
	v_mad_u64_u32 v[6:7], s[10:11], s4, v37, 0
	v_mov_b32_e32 v8, v5
	v_mov_b32_e32 v10, v7
	v_mad_u64_u32 v[8:9], s[6:7], s7, v36, v[8:9]
	v_mov_b32_e32 v5, v8
	v_mad_u64_u32 v[8:9], s[6:7], s5, v37, v[10:11]
	v_mov_b32_e32 v7, v8
	v_lshl_add_u64 v[2:3], v[4:5], 3, v[2:3]
	v_lshl_add_u64 v[2:3], v[6:7], 3, v[2:3]
	global_load_dwordx2 v[4:5], v[2:3], off
	v_mad_u64_u32 v[2:3], s[6:7], s4, v0, v[2:3]
	s_mul_i32 s10, s5, 0x1c0
	v_add_u32_e32 v3, s10, v3
	v_mad_u64_u32 v[10:11], s[6:7], s4, v0, v[2:3]
	v_add_u32_e32 v11, s10, v11
	global_load_dwordx2 v[6:7], v52, s[8:9]
	global_load_dwordx2 v[8:9], v52, s[8:9] offset:448
	global_load_dwordx2 v[12:13], v[2:3], off
	global_load_dwordx2 v[14:15], v[10:11], off
	v_mad_u64_u32 v[2:3], s[6:7], s4, v0, v[10:11]
	v_add_u32_e32 v3, s10, v3
	v_mad_u64_u32 v[18:19], s[6:7], s4, v0, v[2:3]
	global_load_dwordx2 v[10:11], v52, s[8:9] offset:896
	global_load_dwordx2 v[16:17], v52, s[8:9] offset:1344
	v_add_u32_e32 v19, s10, v19
	global_load_dwordx2 v[2:3], v[2:3], off
	s_nop 0
	global_load_dwordx2 v[20:21], v[18:19], off
	global_load_dwordx2 v[22:23], v52, s[8:9] offset:1792
	v_mad_u64_u32 v[18:19], s[6:7], s4, v0, v[18:19]
	v_add_u32_e32 v19, s10, v19
	global_load_dwordx2 v[24:25], v[18:19], off
	global_load_dwordx2 v[28:29], v52, s[8:9] offset:2240
	v_mad_u64_u32 v[18:19], s[6:7], s4, v0, v[18:19]
	v_add_u32_e32 v19, s10, v19
	global_load_dwordx2 v[30:31], v[18:19], off
	global_load_dwordx2 v[32:33], v52, s[8:9] offset:2688
	v_mad_u64_u32 v[0:1], s[4:5], s4, v0, v[18:19]
	v_add_u32_e32 v1, s10, v1
	global_load_dwordx2 v[18:19], v52, s[8:9] offset:3136
	global_load_dwordx2 v[34:35], v[0:1], off
	s_waitcnt vmcnt(14)
	v_mul_f32_e32 v0, v5, v7
	v_mul_f32_e32 v1, v4, v7
	v_fmac_f32_e32 v0, v4, v6
	v_fma_f32 v1, v5, v6, -v1
	ds_write_b64 v27, v[0:1]
	s_waitcnt vmcnt(12)
	v_mul_f32_e32 v0, v13, v9
	v_mul_f32_e32 v1, v12, v9
	v_fmac_f32_e32 v0, v12, v8
	s_waitcnt vmcnt(10)
	v_mul_f32_e32 v4, v15, v11
	v_mul_f32_e32 v5, v14, v11
	v_fma_f32 v1, v13, v8, -v1
	v_fmac_f32_e32 v4, v14, v10
	v_fma_f32 v5, v15, v10, -v5
	ds_write2_b64 v38, v[0:1], v[4:5] offset0:56 offset1:112
	s_waitcnt vmcnt(8)
	v_mul_f32_e32 v0, v3, v17
	v_mul_f32_e32 v1, v2, v17
	v_fmac_f32_e32 v0, v2, v16
	v_fma_f32 v1, v3, v16, -v1
	s_waitcnt vmcnt(6)
	v_mul_f32_e32 v2, v21, v23
	v_mul_f32_e32 v3, v20, v23
	v_fmac_f32_e32 v2, v20, v22
	v_fma_f32 v3, v21, v22, -v3
	ds_write2_b64 v38, v[0:1], v[2:3] offset0:168 offset1:224
	s_waitcnt vmcnt(4)
	v_mul_f32_e32 v0, v25, v29
	v_mul_f32_e32 v1, v24, v29
	s_waitcnt vmcnt(2)
	v_mul_f32_e32 v2, v31, v33
	v_mul_f32_e32 v3, v30, v33
	v_fmac_f32_e32 v0, v24, v28
	v_fma_f32 v1, v25, v28, -v1
	v_fmac_f32_e32 v2, v30, v32
	v_fma_f32 v3, v31, v32, -v3
	ds_write2_b64 v39, v[0:1], v[2:3] offset0:24 offset1:80
	s_waitcnt vmcnt(0)
	v_mul_f32_e32 v0, v35, v19
	v_mul_f32_e32 v1, v34, v19
	v_fmac_f32_e32 v0, v34, v18
	v_fma_f32 v1, v35, v18, -v1
	ds_write_b64 v38, v[0:1] offset:3136
.LBB0_3:
	s_or_b64 exec, exec, s[14:15]
	s_load_dwordx2 s[4:5], s[0:1], 0x20
	s_load_dwordx2 s[10:11], s[0:1], 0x8
	v_lshlrev_b32_e32 v54, 3, v53
	s_waitcnt lgkmcnt(0)
	s_barrier
	s_waitcnt lgkmcnt(0)
                                        ; implicit-def: $vgpr12
                                        ; implicit-def: $vgpr16
                                        ; implicit-def: $vgpr0
                                        ; implicit-def: $vgpr4
                                        ; implicit-def: $vgpr8
                                        ; implicit-def: $vgpr18
                                        ; implicit-def: $vgpr14
                                        ; implicit-def: $vgpr10
	s_and_saveexec_b64 s[0:1], vcc
	s_cbranch_execz .LBB0_5
; %bb.4:
	v_lshl_add_u32 v13, v37, 3, v54
	v_add_u32_e32 v4, 0x800, v13
	v_lshlrev_b32_e32 v12, 3, v26
	ds_read2_b64 v[0:3], v13 offset0:56 offset1:112
	ds_read2_b64 v[8:11], v13 offset0:168 offset1:224
	;; [unrolled: 1-line block ×3, first 2 shown]
	ds_read_b64 v[18:19], v13 offset:3136
	ds_read_b64 v[14:15], v12
	s_waitcnt lgkmcnt(4)
	v_mov_b32_e32 v12, v0
	s_waitcnt lgkmcnt(3)
	v_mov_b32_e32 v13, v8
	;; [unrolled: 2-line block ×4, first 2 shown]
	v_mov_b32_e32 v0, v9
	v_mov_b32_e32 v4, v19
	s_waitcnt lgkmcnt(0)
	v_mov_b32_e32 v8, v14
	v_mov_b32_e32 v9, v2
	;; [unrolled: 1-line block ×6, first 2 shown]
.LBB0_5:
	s_or_b64 exec, exec, s[0:1]
	v_pk_add_f32 v[18:19], v[8:9], v[18:19] neg_lo:[0,1] neg_hi:[0,1]
	v_pk_add_f32 v[20:21], v[14:15], v[10:11] neg_lo:[0,1] neg_hi:[0,1]
	;; [unrolled: 1-line block ×4, first 2 shown]
	v_pk_add_f32 v[4:5], v[18:19], v[20:21]
	v_pk_add_f32 v[2:3], v[18:19], v[20:21] neg_lo:[0,1] neg_hi:[0,1]
	v_pk_add_f32 v[16:17], v[6:7], v[10:11]
	v_mov_b32_e32 v3, v5
	v_pk_add_f32 v[4:5], v[6:7], v[10:11] neg_lo:[0,1] neg_hi:[0,1]
	s_mov_b32 s6, 0x3f3504f3
	v_mov_b32_e32 v5, v17
	v_pk_mul_f32 v[16:17], v[4:5], s[6:7] op_sel_hi:[1,0]
	v_pk_fma_f32 v[22:23], v[4:5], s[6:7], v[2:3] op_sel_hi:[1,0,1]
	s_nop 0
	v_pk_add_f32 v[28:29], v[22:23], v[16:17] op_sel:[0,1] op_sel_hi:[1,0]
	v_pk_add_f32 v[24:25], v[22:23], v[16:17] op_sel:[0,1] op_sel_hi:[1,0] neg_lo:[0,1] neg_hi:[0,1]
	s_barrier
	v_mov_b32_e32 v25, v29
	s_and_saveexec_b64 s[0:1], vcc
	s_cbranch_execz .LBB0_7
; %bb.6:
	v_mov_b32_e32 v16, v8
	v_mov_b32_e32 v17, v15
	;; [unrolled: 1-line block ×8, first 2 shown]
	v_pk_fma_f32 v[16:17], v[16:17], 2.0, v[22:23] op_sel_hi:[1,0,1] neg_lo:[0,0,1] neg_hi:[0,0,1]
	v_pk_fma_f32 v[8:9], v[8:9], 2.0, v[14:15] op_sel_hi:[1,0,1] neg_lo:[0,0,1] neg_hi:[0,0,1]
	v_mov_b32_e32 v18, v6
	v_pk_add_f32 v[14:15], v[16:17], v[8:9] neg_lo:[0,1] neg_hi:[0,1]
	v_mov_b32_e32 v8, v12
	v_mov_b32_e32 v9, v1
	;; [unrolled: 1-line block ×7, first 2 shown]
	v_pk_fma_f32 v[8:9], v[8:9], 2.0, v[18:19] op_sel_hi:[1,0,1] neg_lo:[0,0,1] neg_hi:[0,0,1]
	v_pk_fma_f32 v[0:1], v[12:13], 2.0, v[0:1] op_sel_hi:[1,0,1] neg_lo:[0,0,1] neg_hi:[0,0,1]
	;; [unrolled: 1-line block ×5, first 2 shown]
	v_pk_add_f32 v[0:1], v[8:9], v[0:1] neg_lo:[0,1] neg_hi:[0,1]
	v_pk_mul_f32 v[12:13], v[4:5], s[6:7] op_sel_hi:[1,0]
	v_pk_fma_f32 v[4:5], v[4:5], s[6:7], v[16:17] op_sel_hi:[1,0,1] neg_lo:[1,0,0] neg_hi:[1,0,0]
	v_pk_fma_f32 v[6:7], v[8:9], 2.0, v[0:1] op_sel_hi:[1,0,1] neg_lo:[0,0,1] neg_hi:[0,0,1]
	v_pk_add_f32 v[8:9], v[4:5], v[12:13] op_sel:[0,1] op_sel_hi:[1,0] neg_lo:[0,1] neg_hi:[0,1]
	v_pk_add_f32 v[4:5], v[4:5], v[12:13] op_sel:[0,1] op_sel_hi:[1,0]
	v_pk_add_f32 v[6:7], v[10:11], v[6:7] neg_lo:[0,1] neg_hi:[0,1]
	v_mov_b32_e32 v9, v5
	v_add_lshl_u32 v27, v53, v52, 3
	v_pk_fma_f32 v[10:11], v[10:11], 2.0, v[6:7] op_sel_hi:[1,0,1] neg_lo:[0,0,1] neg_hi:[0,0,1]
	v_pk_fma_f32 v[12:13], v[16:17], 2.0, v[8:9] op_sel_hi:[1,0,1] neg_lo:[0,0,1] neg_hi:[0,0,1]
	ds_write_b128 v27, v[10:13]
	v_pk_add_f32 v[22:23], v[14:15], v[0:1] op_sel:[0,1] op_sel_hi:[1,0] neg_lo:[0,1] neg_hi:[0,1]
	v_pk_add_f32 v[10:11], v[14:15], v[0:1] op_sel:[0,1] op_sel_hi:[1,0]
	v_pk_fma_f32 v[2:3], v[2:3], 2.0, v[24:25] op_sel_hi:[1,0,1] neg_lo:[0,0,1] neg_hi:[0,0,1]
	v_mov_b32_e32 v23, v11
	v_pk_fma_f32 v[0:1], v[14:15], 2.0, v[22:23] op_sel_hi:[1,0,1] neg_lo:[0,0,1] neg_hi:[0,0,1]
	ds_write_b128 v27, v[0:3] offset:16
	ds_write_b128 v27, v[6:9] offset:32
	;; [unrolled: 1-line block ×3, first 2 shown]
.LBB0_7:
	s_or_b64 exec, exec, s[0:1]
	v_and_b32_e32 v58, 7, v37
	v_mul_u32_u24_e32 v0, 6, v58
	v_lshlrev_b32_e32 v12, 3, v0
	s_load_dwordx4 s[4:7], s[4:5], 0x0
	s_waitcnt lgkmcnt(0)
	s_barrier
	global_load_dwordx4 v[8:11], v12, s[10:11] offset:16
	global_load_dwordx4 v[4:7], v12, s[10:11]
	global_load_dwordx4 v[0:3], v12, s[10:11] offset:32
	v_lshlrev_b32_e32 v55, 3, v26
	ds_read2st64_b64 v[12:15], v55 offset1:1
	ds_read2st64_b64 v[16:19], v55 offset0:2 offset1:3
	ds_read2st64_b64 v[20:23], v55 offset0:4 offset1:5
	ds_read_b64 v[26:27], v55 offset:3072
	s_mov_b32 s14, 0x3f955555
	s_mov_b32 s15, 0x3d64c772
	;; [unrolled: 1-line block ×9, first 2 shown]
	s_waitcnt lgkmcnt(0)
	s_barrier
	s_waitcnt vmcnt(2)
	v_pk_mul_f32 v[28:29], v[18:19], v[8:9] op_sel:[0,1]
	v_mov_b32_e32 v30, v11
	s_waitcnt vmcnt(1)
	v_pk_mul_f32 v[32:33], v[14:15], v[4:5] op_sel:[0,1]
	v_mov_b32_e32 v34, v7
	;; [unrolled: 3-line block ×3, first 2 shown]
	v_pk_fma_f32 v[42:43], v[18:19], v[8:9], v[28:29] op_sel:[0,0,1] op_sel_hi:[1,1,0] neg_lo:[0,0,1] neg_hi:[0,0,1]
	v_pk_fma_f32 v[18:19], v[18:19], v[8:9], v[28:29] op_sel:[0,0,1] op_sel_hi:[1,0,0]
	v_pk_mul_f32 v[28:29], v[20:21], v[30:31] op_sel_hi:[1,0]
	v_pk_fma_f32 v[30:31], v[14:15], v[4:5], v[32:33] op_sel:[0,0,1] op_sel_hi:[1,1,0] neg_lo:[0,0,1] neg_hi:[0,0,1]
	v_pk_fma_f32 v[14:15], v[14:15], v[4:5], v[32:33] op_sel:[0,0,1] op_sel_hi:[1,0,0]
	v_pk_mul_f32 v[32:33], v[16:17], v[34:35] op_sel_hi:[1,0]
	;; [unrolled: 3-line block ×3, first 2 shown]
	v_pk_fma_f32 v[40:41], v[20:21], v[10:11], v[28:29] op_sel:[0,0,1] op_sel_hi:[1,0,0] neg_lo:[0,0,1] neg_hi:[0,0,1]
	v_pk_fma_f32 v[20:21], v[20:21], v[10:11], v[28:29] op_sel:[0,0,1] op_sel_hi:[1,0,0]
	v_mov_b32_e32 v31, v15
	v_pk_fma_f32 v[14:15], v[16:17], v[6:7], v[32:33] op_sel:[0,0,1] op_sel_hi:[1,1,0] neg_lo:[0,0,1] neg_hi:[0,0,1]
	v_pk_fma_f32 v[28:29], v[26:27], v[2:3], v[38:39] op_sel:[0,0,1] op_sel_hi:[1,1,0] neg_lo:[0,0,1] neg_hi:[0,0,1]
	v_pk_fma_f32 v[26:27], v[26:27], v[2:3], v[38:39] op_sel:[0,0,1] op_sel_hi:[1,0,0]
	v_mov_b32_e32 v43, v19
	v_pk_fma_f32 v[16:17], v[16:17], v[6:7], v[32:33] op_sel:[0,0,1] op_sel_hi:[1,0,0]
	v_mov_b32_e32 v18, v19
	v_mov_b32_e32 v33, v34
	;; [unrolled: 1-line block ×8, first 2 shown]
	v_pk_add_f32 v[38:39], v[30:31], v[28:29]
	v_pk_add_f32 v[18:19], v[18:19], v[32:33]
	v_mov_b32_e32 v16, v23
	v_mov_b32_e32 v20, v17
	v_pk_add_f32 v[28:29], v[30:31], v[28:29] neg_lo:[0,1] neg_hi:[0,1]
	v_pk_add_f32 v[14:15], v[14:15], v[34:35] neg_lo:[0,1] neg_hi:[0,1]
	;; [unrolled: 1-line block ×3, first 2 shown]
	v_mov_b32_e32 v21, v19
	v_mov_b32_e32 v17, v38
	;; [unrolled: 1-line block ×3, first 2 shown]
	v_sub_f32_e32 v22, v39, v18
	v_mov_b32_e32 v34, v28
	v_mov_b32_e32 v35, v31
	v_mov_b32_e32 v40, v30
	v_mov_b32_e32 v41, v15
	v_pk_add_f32 v[16:17], v[20:21], v[16:17]
	v_mov_b32_e32 v23, v42
	v_mov_b32_e32 v26, v39
	v_pk_add_f32 v[20:21], v[34:35], v[40:41] neg_lo:[0,1] neg_hi:[0,1]
	v_mul_f32_e32 v35, 0x3f4a47b2, v22
	v_mov_b32_e32 v22, v16
	v_pk_add_f32 v[22:23], v[22:23], v[26:27]
	v_pk_add_f32 v[32:33], v[30:31], v[14:15]
	v_pk_add_f32 v[42:43], v[14:15], v[28:29] neg_lo:[0,1] neg_hi:[0,1]
	v_pk_add_f32 v[44:45], v[16:17], v[26:27] neg_lo:[0,1] neg_hi:[0,1]
	v_sub_f32_e32 v15, v38, v23
	v_pk_add_f32 v[26:27], v[16:17], v[22:23]
	v_pk_add_f32 v[50:51], v[22:23], v[18:19]
	v_pk_add_f32 v[22:23], v[22:23], v[18:19] neg_lo:[0,1] neg_hi:[0,1]
	v_mov_b32_e32 v17, v38
	v_mov_b32_e32 v51, v23
	;; [unrolled: 1-line block ×5, first 2 shown]
	v_pk_add_f32 v[26:27], v[12:13], v[22:23]
	v_pk_add_f32 v[16:17], v[18:19], v[16:17] neg_lo:[0,1] neg_hi:[0,1]
	v_pk_add_f32 v[32:33], v[32:33], v[28:29]
	v_mul_f32_e32 v39, 0x3f4a47b2, v15
	v_xor_b32_e32 v56, 0x80000000, v35
	v_mov_b32_e32 v57, v26
	v_mov_b32_e32 v28, v30
	;; [unrolled: 1-line block ×3, first 2 shown]
	v_pk_mul_f32 v[18:19], v[16:17], s[20:21]
	v_mul_f32_e32 v43, 0x3f5ff5aa, v43
	v_pk_mul_f32 v[22:23], v[44:45], s[16:17]
	v_pk_fma_f32 v[44:45], v[44:45], s[16:17], v[56:57] neg_lo:[1,0,0] neg_hi:[1,0,0]
	v_pk_add_f32 v[14:15], v[28:29], v[14:15] neg_lo:[0,1] neg_hi:[0,1]
	s_mov_b32 s16, s19
	s_mov_b32 s17, s18
	v_mov_b32_e32 v30, v27
	v_mov_b32_e32 v31, v19
	v_mul_f32_e32 v40, 0x3f5ff5aa, v42
	v_pk_mul_f32 v[48:49], v[20:21], s[18:19]
	v_pk_mul_f32 v[12:13], v[50:51], s[14:15]
	v_xor_b32_e32 v23, 0x80000000, v39
	v_xor_b32_e32 v41, 0x80000000, v43
	v_pk_mul_f32 v[28:29], v[14:15], s[16:17]
	v_pk_fma_f32 v[30:31], v[50:51], s[14:15], v[30:31] neg_lo:[1,0,0] neg_hi:[1,0,0]
	v_pk_mul_f32 v[46:47], v[32:33], s[0:1] op_sel_hi:[1,0]
	v_xor_b32_e32 v42, 0x80000000, v40
	v_pk_fma_f32 v[16:17], v[16:17], s[20:21], v[22:23] neg_lo:[1,0,0] neg_hi:[1,0,0]
	v_pk_fma_f32 v[14:15], v[14:15], s[16:17], v[40:41] neg_lo:[1,0,0] neg_hi:[1,0,0]
	v_mov_b32_e32 v22, v30
	v_mov_b32_e32 v23, v45
	;; [unrolled: 1-line block ×7, first 2 shown]
	v_pk_fma_f32 v[20:21], v[20:21], s[18:19], v[42:43] neg_lo:[1,0,0] neg_hi:[1,0,0]
	v_pk_add_f32 v[16:17], v[16:17], v[22:23]
	v_pk_add_f32 v[22:23], v[30:31], v[44:45]
	;; [unrolled: 1-line block ×3, first 2 shown]
	v_mov_b32_e32 v34, v46
	v_mov_b32_e32 v35, v30
	v_pk_add_f32 v[12:13], v[12:13], v[38:39]
	v_mov_b32_e32 v44, v47
	v_pk_fma_f32 v[20:21], v[32:33], s[0:1], v[20:21] op_sel_hi:[1,0,1]
	v_pk_add_f32 v[18:19], v[34:35], v[18:19]
	v_pk_add_f32 v[12:13], v[44:45], v[12:13]
	v_pk_fma_f32 v[14:15], v[32:33], s[0:1], v[14:15] op_sel_hi:[1,0,1]
	v_mov_b32_e32 v28, v13
	v_mov_b32_e32 v30, v22
	;; [unrolled: 1-line block ×5, first 2 shown]
	v_pk_add_f32 v[28:29], v[12:13], v[28:29]
	v_pk_add_f32 v[40:41], v[30:31], v[32:33] neg_lo:[0,1] neg_hi:[0,1]
	v_pk_add_f32 v[30:31], v[14:15], v[16:17]
	v_mov_b32_e32 v32, v16
	v_mov_b32_e32 v16, v13
	;; [unrolled: 1-line block ×3, first 2 shown]
	v_pk_add_f32 v[42:43], v[16:17], v[12:13] neg_lo:[0,1] neg_hi:[0,1]
	v_mov_b32_e32 v12, v19
	v_pk_add_f32 v[44:45], v[18:19], v[12:13]
	v_lshrrev_b32_e32 v12, 3, v37
	v_mov_b32_e32 v33, v23
	v_mov_b32_e32 v34, v14
	;; [unrolled: 1-line block ×3, first 2 shown]
	v_mul_u32_u24_e32 v12, 56, v12
	v_pk_add_f32 v[34:35], v[32:33], v[34:35] neg_lo:[0,1] neg_hi:[0,1]
	v_or_b32_e32 v12, v12, v58
	v_pk_add_f32 v[32:33], v[20:21], v[22:23]
	v_add_lshl_u32 v56, v53, v12, 3
	v_mov_b32_e32 v12, v31
	v_mov_b32_e32 v13, v40
	;; [unrolled: 1-line block ×4, first 2 shown]
	ds_write2_b64 v56, v[12:13], v[14:15] offset0:16 offset1:24
	v_mov_b32_e32 v12, v33
	v_mov_b32_e32 v13, v34
	;; [unrolled: 1-line block ×5, first 2 shown]
	ds_write2_b64 v56, v[12:13], v[14:15] offset0:32 offset1:40
	v_mov_b32_e32 v12, v42
	v_mov_b32_e32 v13, v44
	ds_write2_b64 v56, v[26:27], v[28:29] offset1:8
	ds_write_b64 v56, v[12:13] offset:384
	s_waitcnt lgkmcnt(0)
	s_barrier
	s_waitcnt lgkmcnt(0)
                                        ; implicit-def: $vgpr46
	s_and_saveexec_b64 s[0:1], s[2:3]
	s_xor_b64 s[0:1], exec, s[0:1]
; %bb.8:
	v_mov_b32_e32 v46, v27
; %bb.9:
	s_andn2_saveexec_b64 s[0:1], s[0:1]
	s_cbranch_execz .LBB0_11
; %bb.10:
	v_add_u32_e32 v12, 0x400, v55
	v_add_u32_e32 v20, 0x800, v55
	ds_read2_b64 v[12:15], v12 offset0:96 offset1:152
	ds_read2_b64 v[26:29], v55 offset1:56
	ds_read2_b64 v[16:19], v55 offset0:112 offset1:168
	ds_read2_b64 v[22:25], v20 offset0:80 offset1:136
	s_waitcnt lgkmcnt(3)
	v_mov_b32_e32 v32, v15
	v_mov_b32_e32 v33, v12
	s_waitcnt lgkmcnt(1)
	v_mov_b32_e32 v30, v19
	v_mov_b32_e32 v31, v16
	;; [unrolled: 3-line block ×3, first 2 shown]
	v_mov_b32_e32 v34, v13
	v_mov_b32_e32 v35, v18
	;; [unrolled: 1-line block ×6, first 2 shown]
.LBB0_11:
	s_or_b64 exec, exec, s[0:1]
	v_subrev_u32_e32 v12, 56, v37
	v_cndmask_b32_e32 v12, v12, v37, vcc
	v_mul_hi_i32_i24_e32 v13, 56, v12
	v_mul_i32_i24_e32 v12, 56, v12
	v_lshl_add_u64 v[48:49], s[10:11], 0, v[12:13]
	global_load_dwordx4 v[16:19], v[48:49], off offset:384
	global_load_dwordx4 v[20:23], v[48:49], off offset:400
	;; [unrolled: 1-line block ×3, first 2 shown]
	global_load_dwordx2 v[38:39], v[48:49], off offset:432
	v_mov_b32_e32 v48, v35
	v_mov_b32_e32 v50, v25
	s_mov_b32 s0, 0x3f3504f3
	s_waitcnt vmcnt(3)
	v_mul_f32_e32 v29, v41, v17
	v_mul_f32_e32 v41, v41, v16
	s_waitcnt vmcnt(1)
	v_mul_f32_e32 v49, v32, v12
	v_mul_f32_e32 v51, v42, v14
	;; [unrolled: 1-line block ×3, first 2 shown]
	v_pk_mul_f32 v[60:61], v[34:35], v[20:21]
	v_mul_f32_e32 v35, v43, v12
	v_mul_f32_e32 v57, v42, v15
	s_waitcnt vmcnt(0)
	v_mov_b32_e32 v42, v39
	v_fmac_f32_e32 v49, v43, v13
	v_fma_f32 v43, -v44, v15, v51
	v_mul_f32_e32 v47, v40, v18
	v_mov_b32_e32 v58, v21
	v_pk_mul_f32 v[62:63], v[24:25], v[38:39]
	v_mul_f32_e32 v59, v33, v22
	v_fmac_f32_e32 v41, v28, v17
	v_fma_f32 v45, -v40, v19, v45
	v_mov_b32_e32 v40, v61
	v_pk_mul_f32 v[24:25], v[24:25], v[42:43]
	v_mul_f32_e32 v60, v34, v22
	v_fma_f32 v64, v28, v16, -v29
	v_fmac_f32_e32 v47, v31, v19
	v_pk_mul_f32 v[28:29], v[30:31], v[58:59]
	v_fma_f32 v34, -v34, v23, v59
	v_pk_fma_f32 v[30:31], v[30:31], v[20:21], v[40:41]
	v_pk_fma_f32 v[24:25], v[50:51], v[38:39], v[24:25]
	v_fmac_f32_e32 v57, v44, v14
	v_fmac_f32_e32 v60, v33, v23
	v_sub_f32_e32 v25, v26, v34
	v_sub_f32_e32 v31, v45, v43
	v_fma_f32 v35, -v32, v13, v35
	v_mov_b32_e32 v32, v63
	v_pk_fma_f32 v[28:29], v[48:49], v[20:21], v[28:29] neg_lo:[0,0,1] neg_hi:[0,0,1]
	v_sub_f32_e32 v42, v46, v60
	v_sub_f32_e32 v40, v47, v57
	v_fma_f32 v46, v26, 2.0, -v25
	v_fma_f32 v43, v45, 2.0, -v31
	v_mov_b32_e32 v63, v30
	v_mov_b32_e32 v33, v24
	v_sub_f32_e32 v44, v64, v35
	v_sub_f32_e32 v50, v41, v49
	v_fma_f32 v45, v47, 2.0, -v40
	v_add_f32_e32 v29, v30, v30
	v_sub_f32_e32 v24, v25, v40
	v_add_f32_e32 v40, v42, v31
	v_pk_add_f32 v[30:31], v[62:63], v[32:33] neg_lo:[0,1] neg_hi:[0,1]
	v_sub_f32_e32 v43, v46, v43
	v_fma_f32 v49, v27, 2.0, -v42
	v_fma_f32 v35, v41, 2.0, -v50
	v_add_f32_e32 v34, v28, v28
	v_fma_f32 v41, v42, 2.0, -v40
	v_pk_add_f32 v[28:29], v[28:29], v[30:31] neg_lo:[0,1] neg_hi:[0,1]
	v_fma_f32 v42, v46, 2.0, -v43
	v_sub_f32_e32 v46, v44, v31
	v_fma_f32 v26, v64, 2.0, -v44
	v_add_f32_e32 v27, v35, v35
	v_sub_f32_e32 v48, v49, v45
	v_fma_f32 v25, v25, 2.0, -v24
	v_pk_add_f32 v[30:31], v[34:35], v[28:29] neg_lo:[0,1] neg_hi:[0,1]
	v_add_f32_e32 v28, v50, v28
	v_fma_f32 v47, v44, 2.0, -v46
	v_fma_f32 v49, v49, 2.0, -v48
	v_pk_add_f32 v[32:33], v[26:27], v[30:31] neg_lo:[0,1] neg_hi:[0,1]
	v_fma_f32 v29, v50, 2.0, -v28
	v_pk_fma_f32 v[34:35], v[46:47], s[0:1], v[24:25] op_sel_hi:[1,0,1] neg_lo:[1,0,0] neg_hi:[1,0,0]
	v_pk_fma_f32 v[50:51], v[46:47], s[0:1], v[24:25] op_sel_hi:[1,0,1]
	v_fma_f32 v30, v26, 2.0, -v32
	v_pk_add_f32 v[44:45], v[48:49], v[32:33]
	v_pk_add_f32 v[26:27], v[48:49], v[32:33] neg_lo:[0,1] neg_hi:[0,1]
	v_mov_b32_e32 v51, v35
	v_pk_fma_f32 v[34:35], v[28:29], s[0:1], v[40:41] op_sel_hi:[1,0,1]
	v_pk_fma_f32 v[32:33], v[28:29], s[0:1], v[40:41] op_sel_hi:[1,0,1] neg_lo:[1,0,0] neg_hi:[1,0,0]
	v_mov_b32_e32 v45, v27
	v_pk_fma_f32 v[26:27], v[28:29], s[0:1], v[50:51] op_sel_hi:[1,0,1] neg_lo:[1,0,0] neg_hi:[1,0,0]
	v_mov_b32_e32 v35, v33
	v_pk_add_f32 v[30:31], v[42:43], v[30:31] neg_lo:[0,1] neg_hi:[0,1]
	v_pk_fma_f32 v[46:47], v[46:47], s[0:1], v[34:35] op_sel_hi:[1,0,1]
	v_pk_fma_f32 v[34:35], v[24:25], 2.0, v[26:27] op_sel_hi:[1,0,1] neg_lo:[0,0,1] neg_hi:[0,0,1]
	v_mov_b32_e32 v32, v27
	v_mov_b32_e32 v33, v26
	v_pk_fma_f32 v[42:43], v[42:43], 2.0, v[30:31] op_sel_hi:[1,0,1] neg_lo:[0,0,1] neg_hi:[0,0,1]
	v_pk_fma_f32 v[28:29], v[48:49], 2.0, v[44:45] op_sel_hi:[1,0,1] neg_lo:[0,0,1] neg_hi:[0,0,1]
	v_mov_b32_e32 v24, v35
	v_mov_b32_e32 v25, v34
	v_pk_fma_f32 v[40:41], v[40:41], 2.0, v[46:47] op_sel_hi:[1,0,1] neg_lo:[0,0,1] neg_hi:[0,0,1]
	s_and_saveexec_b64 s[0:1], vcc
	s_cbranch_execz .LBB0_13
; %bb.12:
	v_mov_b32_e32 v34, v42
	v_mov_b32_e32 v35, v29
	ds_write_b64 v55, v[34:35]
	v_lshl_add_u32 v50, v37, 3, v54
	v_mov_b32_e32 v34, v24
	v_mov_b32_e32 v35, v41
	;; [unrolled: 1-line block ×4, first 2 shown]
	ds_write2_b64 v50, v[34:35], v[48:49] offset0:56 offset1:112
	v_mov_b32_e32 v34, v25
	v_mov_b32_e32 v35, v40
	;; [unrolled: 1-line block ×4, first 2 shown]
	ds_write2_b64 v50, v[34:35], v[48:49] offset0:168 offset1:224
	v_mov_b32_e32 v34, v32
	v_mov_b32_e32 v35, v47
	;; [unrolled: 1-line block ×4, first 2 shown]
	v_add_u32_e32 v27, 0x800, v50
	ds_write2_b64 v27, v[34:35], v[48:49] offset0:24 offset1:80
	v_mov_b32_e32 v27, v46
	ds_write_b64 v50, v[26:27] offset:3136
.LBB0_13:
	s_or_b64 exec, exec, s[0:1]
	s_waitcnt lgkmcnt(0)
	s_barrier
	s_and_saveexec_b64 s[0:1], vcc
	s_cbranch_execz .LBB0_15
; %bb.14:
	global_load_dwordx2 v[26:27], v52, s[8:9] offset:3584
	s_add_u32 s10, s8, 0xe00
	s_addc_u32 s11, s9, 0
	global_load_dwordx2 v[34:35], v52, s[10:11] offset:448
	global_load_dwordx2 v[66:67], v52, s[10:11] offset:896
	;; [unrolled: 1-line block ×7, first 2 shown]
	ds_read_b64 v[48:49], v55
	v_lshl_add_u32 v57, v53, 3, v52
	v_add_u32_e32 v80, 0x800, v57
	s_waitcnt vmcnt(7) lgkmcnt(0)
	v_mul_f32_e32 v50, v49, v27
	v_mul_f32_e32 v51, v48, v27
	v_fma_f32 v50, v48, v26, -v50
	v_fmac_f32_e32 v51, v49, v26
	ds_write_b64 v55, v[50:51]
	ds_read2_b64 v[48:51], v57 offset0:56 offset1:112
	ds_read2_b64 v[58:61], v57 offset0:168 offset1:224
	ds_read2_b64 v[62:65], v80 offset0:24 offset1:80
	ds_read_b64 v[26:27], v57 offset:3136
	s_waitcnt vmcnt(4) lgkmcnt(2)
	v_mul_f32_e32 v82, v59, v69
	v_mul_f32_e32 v78, v49, v35
	v_mul_f32_e32 v79, v48, v35
	v_mul_f32_e32 v81, v51, v67
	v_mul_f32_e32 v35, v50, v67
	v_mul_f32_e32 v67, v58, v69
	s_waitcnt vmcnt(3)
	v_mul_f32_e32 v83, v61, v71
	v_mul_f32_e32 v69, v60, v71
	s_waitcnt vmcnt(2) lgkmcnt(1)
	v_mul_f32_e32 v84, v63, v73
	v_mul_f32_e32 v71, v62, v73
	s_waitcnt vmcnt(1)
	v_mul_f32_e32 v85, v65, v75
	v_mul_f32_e32 v73, v64, v75
	s_waitcnt vmcnt(0) lgkmcnt(0)
	v_mul_f32_e32 v86, v27, v77
	v_mul_f32_e32 v75, v26, v77
	v_fma_f32 v78, v48, v34, -v78
	v_fmac_f32_e32 v79, v49, v34
	v_fma_f32 v34, v50, v66, -v81
	v_fmac_f32_e32 v35, v51, v66
	;; [unrolled: 2-line block ×7, first 2 shown]
	ds_write2_b64 v57, v[78:79], v[34:35] offset0:56 offset1:112
	ds_write2_b64 v57, v[66:67], v[68:69] offset0:168 offset1:224
	;; [unrolled: 1-line block ×3, first 2 shown]
	ds_write_b64 v57, v[74:75] offset:3136
.LBB0_15:
	s_or_b64 exec, exec, s[0:1]
	s_waitcnt lgkmcnt(0)
	s_barrier
	s_and_saveexec_b64 s[0:1], s[2:3]
	s_xor_b64 s[0:1], exec, s[0:1]
	s_andn2_saveexec_b64 s[0:1], s[0:1]
	s_cbranch_execz .LBB0_17
; %bb.16:
	v_lshl_add_u32 v32, v37, 3, v54
	v_add_u32_e32 v33, 0x800, v32
	ds_read2_b64 v[24:27], v32 offset0:56 offset1:112
	ds_read2_b64 v[28:31], v32 offset0:168 offset1:224
	ds_read_b64 v[44:45], v32 offset:3136
	ds_read2_b64 v[32:35], v33 offset0:24 offset1:80
	ds_read_b64 v[42:43], v55
	s_waitcnt lgkmcnt(4)
	v_mov_b32_e32 v41, v25
	s_waitcnt lgkmcnt(3)
	v_mov_b32_e32 v40, v29
	;; [unrolled: 2-line block ×4, first 2 shown]
	v_mov_b32_e32 v25, v28
	v_mov_b32_e32 v33, v44
	;; [unrolled: 1-line block ×3, first 2 shown]
	s_waitcnt lgkmcnt(0)
	v_mov_b32_e32 v29, v43
	v_mov_b32_e32 v44, v35
	;; [unrolled: 1-line block ×5, first 2 shown]
.LBB0_17:
	s_or_b64 exec, exec, s[0:1]
	v_pk_add_f32 v[48:49], v[42:43], v[30:31] neg_lo:[0,1] neg_hi:[0,1]
	v_pk_add_f32 v[50:51], v[28:29], v[44:45] neg_lo:[0,1] neg_hi:[0,1]
	;; [unrolled: 1-line block ×4, first 2 shown]
	v_pk_add_f32 v[30:31], v[50:51], v[48:49]
	v_pk_add_f32 v[26:27], v[50:51], v[48:49] neg_lo:[0,1] neg_hi:[0,1]
	v_pk_add_f32 v[32:33], v[44:45], v[34:35]
	v_mov_b32_e32 v31, v27
	v_pk_add_f32 v[26:27], v[44:45], v[34:35] neg_lo:[0,1] neg_hi:[0,1]
	s_mov_b32 s10, 0x3f3504f3
	v_mov_b32_e32 v33, v27
	v_pk_mul_f32 v[46:47], v[32:33], s[10:11] op_sel_hi:[1,0]
	v_pk_fma_f32 v[58:59], v[32:33], s[10:11], v[30:31] op_sel_hi:[1,0,1]
	s_nop 0
	v_pk_add_f32 v[26:27], v[58:59], v[46:47] op_sel:[0,1] op_sel_hi:[1,0]
	v_pk_add_f32 v[46:47], v[58:59], v[46:47] op_sel:[0,1] op_sel_hi:[1,0] neg_lo:[0,1] neg_hi:[0,1]
	s_barrier
	v_mov_b32_e32 v27, v47
	s_and_saveexec_b64 s[0:1], vcc
	s_cbranch_execz .LBB0_19
; %bb.18:
	v_mov_b32_e32 v46, v42
	v_mov_b32_e32 v47, v29
	;; [unrolled: 1-line block ×8, first 2 shown]
	v_pk_fma_f32 v[28:29], v[42:43], 2.0, v[28:29] op_sel_hi:[1,0,1] neg_lo:[0,0,1] neg_hi:[0,0,1]
	v_mov_b32_e32 v42, v24
	v_mov_b32_e32 v43, v41
	;; [unrolled: 1-line block ×8, first 2 shown]
	v_pk_fma_f32 v[46:47], v[46:47], 2.0, v[58:59] op_sel_hi:[1,0,1] neg_lo:[0,0,1] neg_hi:[0,0,1]
	v_pk_fma_f32 v[42:43], v[42:43], 2.0, v[48:49] op_sel_hi:[1,0,1] neg_lo:[0,0,1] neg_hi:[0,0,1]
	;; [unrolled: 1-line block ×3, first 2 shown]
	v_pk_add_f32 v[28:29], v[46:47], v[28:29] neg_lo:[0,1] neg_hi:[0,1]
	v_pk_add_f32 v[34:35], v[42:43], v[24:25] neg_lo:[0,1] neg_hi:[0,1]
	v_pk_fma_f32 v[24:25], v[46:47], 2.0, v[28:29] op_sel_hi:[1,0,1] neg_lo:[0,0,1] neg_hi:[0,0,1]
	v_pk_fma_f32 v[40:41], v[42:43], 2.0, v[34:35] op_sel_hi:[1,0,1] neg_lo:[0,0,1] neg_hi:[0,0,1]
	;; [unrolled: 1-line block ×3, first 2 shown]
	v_pk_add_f32 v[40:41], v[24:25], v[40:41] neg_lo:[0,1] neg_hi:[0,1]
	v_add_lshl_u32 v57, v53, v52, 3
	v_pk_fma_f32 v[44:45], v[24:25], 2.0, v[40:41] op_sel_hi:[1,0,1] neg_lo:[0,0,1] neg_hi:[0,0,1]
	v_pk_fma_f32 v[24:25], v[48:49], 2.0, v[32:33] op_sel_hi:[1,0,1] neg_lo:[0,0,1] neg_hi:[0,0,1]
	;; [unrolled: 1-line block ×3, first 2 shown]
	v_pk_mul_f32 v[32:33], v[24:25], s[10:11] op_sel_hi:[1,0]
	v_pk_fma_f32 v[24:25], v[24:25], s[10:11], v[46:47] op_sel_hi:[1,0,1] neg_lo:[1,0,0] neg_hi:[1,0,0]
	s_nop 0
	v_pk_add_f32 v[42:43], v[24:25], v[32:33] op_sel:[0,1] op_sel_hi:[1,0]
	v_pk_add_f32 v[32:33], v[24:25], v[32:33] op_sel:[0,1] op_sel_hi:[1,0] neg_lo:[0,1] neg_hi:[0,1]
	v_pk_add_f32 v[24:25], v[28:29], v[34:35] op_sel:[0,1] op_sel_hi:[1,0]
	v_pk_add_f32 v[34:35], v[28:29], v[34:35] op_sel:[0,1] op_sel_hi:[1,0] neg_lo:[0,1] neg_hi:[0,1]
	v_mov_b32_e32 v43, v33
	v_mov_b32_e32 v25, v35
	v_pk_fma_f32 v[46:47], v[46:47], 2.0, v[42:43] op_sel_hi:[1,0,1] neg_lo:[0,0,1] neg_hi:[0,0,1]
	v_pk_fma_f32 v[28:29], v[28:29], 2.0, v[24:25] op_sel_hi:[1,0,1] neg_lo:[0,0,1] neg_hi:[0,0,1]
	ds_write_b128 v57, v[44:47]
	ds_write_b128 v57, v[28:31] offset:16
	ds_write_b128 v57, v[40:43] offset:32
	;; [unrolled: 1-line block ×3, first 2 shown]
.LBB0_19:
	s_or_b64 exec, exec, s[0:1]
	s_waitcnt lgkmcnt(0)
	s_barrier
	ds_read2st64_b64 v[28:31], v55 offset0:2 offset1:3
	ds_read2st64_b64 v[32:35], v55 offset1:1
	ds_read2st64_b64 v[40:43], v55 offset0:4 offset1:5
	ds_read_b64 v[24:25], v55 offset:3072
	v_mov_b32_e32 v46, v9
	s_waitcnt lgkmcnt(3)
	v_pk_mul_f32 v[48:49], v[8:9], v[30:31] op_sel:[0,1] op_sel_hi:[1,0]
	v_pk_mul_f32 v[44:45], v[8:9], v[30:31]
	v_mov_b32_e32 v48, v49
	s_waitcnt lgkmcnt(1)
	v_pk_mul_f32 v[50:51], v[10:11], v[40:41] op_sel:[0,1] op_sel_hi:[1,0]
	v_pk_fma_f32 v[8:9], v[8:9], v[30:31], v[48:49] op_sel:[0,1,0] op_sel_hi:[1,0,1] neg_lo:[0,0,1] neg_hi:[0,0,1]
	v_mov_b32_e32 v48, v11
	v_mov_b32_e32 v50, v51
	v_pk_mul_f32 v[46:47], v[46:47], v[30:31] op_sel:[0,1] op_sel_hi:[1,0]
	v_pk_mul_f32 v[30:31], v[10:11], v[40:41]
	v_pk_mul_f32 v[48:49], v[48:49], v[40:41] op_sel:[0,1] op_sel_hi:[1,0]
	v_pk_fma_f32 v[10:11], v[10:11], v[40:41], v[50:51] op_sel:[0,1,0] op_sel_hi:[1,0,1] neg_lo:[0,0,1] neg_hi:[0,0,1]
	v_mov_b32_e32 v40, v35
	v_pk_mul_f32 v[50:51], v[4:5], v[34:35] op_sel_hi:[1,0]
	s_mov_b32 s16, 0x3f4a47b2
	v_pk_fma_f32 v[40:41], v[4:5], v[40:41], v[50:51] op_sel:[0,0,1] op_sel_hi:[1,1,0] neg_lo:[0,0,1] neg_hi:[0,0,1]
	v_pk_fma_f32 v[4:5], v[4:5], v[34:35], v[50:51] op_sel:[0,1,1] op_sel_hi:[1,1,0]
	v_pk_mul_f32 v[34:35], v[6:7], v[28:29] op_sel_hi:[1,0]
	v_mov_b32_e32 v4, v29
	v_mov_b32_e32 v41, v5
	v_pk_fma_f32 v[4:5], v[6:7], v[4:5], v[34:35] op_sel:[0,0,1] op_sel_hi:[1,1,0] neg_lo:[0,0,1] neg_hi:[0,0,1]
	v_pk_fma_f32 v[6:7], v[6:7], v[28:29], v[34:35] op_sel:[0,1,1] op_sel_hi:[1,1,0]
	v_pk_mul_f32 v[28:29], v[0:1], v[42:43] op_sel_hi:[1,0]
	v_mov_b32_e32 v6, v43
	v_mov_b32_e32 v5, v7
	v_pk_fma_f32 v[6:7], v[0:1], v[6:7], v[28:29] op_sel:[0,0,1] op_sel_hi:[1,1,0] neg_lo:[0,0,1] neg_hi:[0,0,1]
	v_pk_fma_f32 v[0:1], v[0:1], v[42:43], v[28:29] op_sel:[0,1,1] op_sel_hi:[1,1,0]
	s_waitcnt lgkmcnt(0)
	v_pk_mul_f32 v[28:29], v[2:3], v[24:25] op_sel_hi:[1,0]
	v_mov_b32_e32 v0, v25
	v_mov_b32_e32 v7, v1
	v_pk_fma_f32 v[0:1], v[2:3], v[0:1], v[28:29] op_sel:[0,0,1] op_sel_hi:[1,1,0] neg_lo:[0,0,1] neg_hi:[0,0,1]
	v_pk_fma_f32 v[2:3], v[2:3], v[24:25], v[28:29] op_sel:[0,1,1] op_sel_hi:[1,1,0]
	v_mov_b32_e32 v31, v40
	v_mov_b32_e32 v1, v3
	;; [unrolled: 1-line block ×5, first 2 shown]
	v_pk_add_f32 v[2:3], v[40:41], v[0:1]
	v_pk_add_f32 v[24:25], v[40:41], v[0:1] neg_lo:[0,1] neg_hi:[0,1]
	v_pk_add_f32 v[30:31], v[30:31], v[48:49]
	v_pk_add_f32 v[0:1], v[44:45], v[46:47]
	;; [unrolled: 1-line block ×3, first 2 shown]
	v_mov_b32_e32 v11, v30
	v_mov_b32_e32 v9, v0
	v_pk_add_f32 v[34:35], v[4:5], v[6:7] neg_lo:[0,1] neg_hi:[0,1]
	v_pk_add_f32 v[4:5], v[10:11], v[8:9] neg_lo:[0,1] neg_hi:[0,1]
	v_mov_b32_e32 v40, v29
	v_mov_b32_e32 v41, v8
	;; [unrolled: 1-line block ×4, first 2 shown]
	v_pk_add_f32 v[8:9], v[40:41], v[8:9]
	v_pk_add_f32 v[10:11], v[0:1], v[30:31]
	v_mov_b32_e32 v0, v29
	v_mov_b32_e32 v30, v3
	v_pk_add_f32 v[28:29], v[0:1], v[30:31] neg_lo:[0,1] neg_hi:[0,1]
	v_sub_f32_e32 v30, v3, v10
	v_mov_b32_e32 v2, v10
	v_mov_b32_e32 v3, v9
	v_pk_add_f32 v[2:3], v[2:3], v[0:1] neg_lo:[0,1] neg_hi:[0,1]
	v_pk_add_f32 v[0:1], v[4:5], v[34:35]
	v_sub_f32_e32 v50, v24, v4
	v_pk_add_f32 v[6:7], v[34:35], v[24:25] neg_lo:[0,1] neg_hi:[0,1]
	v_pk_add_f32 v[34:35], v[4:5], v[34:35] neg_lo:[0,1] neg_hi:[0,1]
	v_pk_add_f32 v[40:41], v[0:1], v[24:25]
	v_mov_b32_e32 v24, v31
	v_mov_b32_e32 v4, v9
	v_pk_add_f32 v[10:11], v[8:9], v[10:11]
	s_mov_b32 s0, 0x3d64c772
	s_mov_b32 s14, 0x3f08b237
	;; [unrolled: 1-line block ×3, first 2 shown]
	v_pk_add_f32 v[4:5], v[24:25], v[4:5] neg_lo:[0,1] neg_hi:[0,1]
	v_pk_add_f32 v[0:1], v[32:33], v[10:11]
	v_pk_mul_f32 v[2:3], v[2:3], s[0:1] op_sel_hi:[1,0]
	s_mov_b32 s0, 0x3f3bfb3b
	v_pk_mul_f32 v[34:35], v[34:35], s[14:15] op_sel_hi:[1,0]
	v_pk_mul_f32 v[24:25], v[4:5], s[16:17]
	v_mul_f32_e32 v11, 0x3f955555, v11
	v_pk_mul_f32 v[32:33], v[28:29], s[0:1] op_sel_hi:[1,0]
	s_mov_b32 s14, 0xbf5ff5aa
	v_fmamk_f32 v8, v10, 0xbf955555, v0
	v_fmamk_f32 v47, v30, 0x3f4a47b2, v2
	v_pk_fma_f32 v[48:49], v[28:29], s[0:1], v[2:3] op_sel_hi:[1,0,1] neg_lo:[0,0,1] neg_hi:[0,0,1]
	s_mov_b32 s0, 0xbf4a47b2
	v_mov_b32_e32 v2, v35
	v_mov_b32_e32 v10, v25
	s_mov_b32 s10, 0xbee1c552
	v_pk_mul_f32 v[44:45], v[6:7], s[14:15] op_sel_hi:[1,0]
	v_fma_f32 v46, v30, s0, -v32
	s_mov_b32 s0, 0x3eae86e6
	v_pk_add_f32 v[30:31], v[2:3], v[10:11]
	v_mov_b32_e32 v2, v3
	v_pk_mul_f32 v[42:43], v[40:41], s[10:11] op_sel_hi:[1,0]
	v_fmamk_f32 v29, v50, 0xbeae86e6, v34
	v_pk_fma_f32 v[6:7], v[6:7], s[14:15], v[34:35] op_sel_hi:[1,0,1] neg_lo:[0,0,1] neg_hi:[0,0,1]
	v_fma_f32 v28, v50, s0, -v44
	v_pk_add_f32 v[10:11], v[0:1], v[10:11] neg_lo:[0,1] neg_hi:[0,1]
	v_pk_fma_f32 v[2:3], v[4:5], s[16:17], v[2:3]
	v_pk_fma_f32 v[4:5], v[4:5], s[16:17], v[44:45] neg_lo:[1,0,1] neg_hi:[1,0,1]
	v_pk_fma_f32 v[40:41], v[40:41], s[10:11], v[6:7] op_sel_hi:[1,0,1]
	v_pk_add_f32 v[6:7], v[46:47], v[8:9] op_sel_hi:[1,0]
	v_pk_add_f32 v[46:47], v[42:43], v[28:29] op_sel_hi:[0,1]
	v_mov_b32_e32 v31, v11
	v_sub_f32_e64 v25, -v24, v33
	v_mov_b32_e32 v3, v5
	v_mov_b32_e32 v24, v43
	;; [unrolled: 1-line block ×3, first 2 shown]
	v_pk_add_f32 v[4:5], v[24:25], v[30:31]
	v_pk_add_f32 v[24:25], v[2:3], v[42:43]
	v_mov_b32_e32 v9, v11
	v_mov_b32_e32 v2, v5
	;; [unrolled: 1-line block ×5, first 2 shown]
	v_pk_add_f32 v[28:29], v[46:47], v[6:7]
	v_pk_add_f32 v[8:9], v[48:49], v[8:9]
	v_pk_add_f32 v[2:3], v[2:3], v[10:11] neg_lo:[0,1] neg_hi:[0,1]
	v_pk_add_f32 v[30:31], v[40:41], v[8:9]
	v_pk_add_f32 v[10:11], v[8:9], v[40:41] neg_lo:[0,1] neg_hi:[0,1]
	v_pk_add_f32 v[32:33], v[24:25], v[4:5]
	v_mov_b32_e32 v4, v29
	v_mov_b32_e32 v5, v3
	v_pk_add_f32 v[6:7], v[6:7], v[46:47] neg_lo:[0,1] neg_hi:[0,1]
	s_barrier
	ds_write2_b64 v56, v[0:1], v[4:5] offset1:8
	v_mov_b32_e32 v4, v28
	v_mov_b32_e32 v5, v2
	;; [unrolled: 1-line block ×4, first 2 shown]
	ds_write2_b64 v56, v[4:5], v[8:9] offset0:16 offset1:24
	v_mov_b32_e32 v4, v30
	v_mov_b32_e32 v5, v11
	;; [unrolled: 1-line block ×4, first 2 shown]
	ds_write2_b64 v56, v[4:5], v[8:9] offset0:32 offset1:40
	v_mov_b32_e32 v4, v7
	v_mov_b32_e32 v5, v32
	ds_write_b64 v56, v[4:5] offset:384
	s_waitcnt lgkmcnt(0)
	s_barrier
	s_and_saveexec_b64 s[0:1], s[2:3]
	s_xor_b64 s[0:1], exec, s[0:1]
	s_andn2_saveexec_b64 s[0:1], s[0:1]
	s_cbranch_execz .LBB0_21
; %bb.20:
	v_add_u32_e32 v0, 0x400, v55
	v_add_u32_e32 v1, 0x800, v55
	ds_read2_b64 v[24:27], v1 offset0:80 offset1:136
	ds_read2_b64 v[4:7], v0 offset0:96 offset1:152
	;; [unrolled: 1-line block ×3, first 2 shown]
	ds_read2_b64 v[0:3], v55 offset1:56
	s_waitcnt lgkmcnt(3)
	v_mov_b32_e32 v32, v25
	s_waitcnt lgkmcnt(2)
	v_mov_b32_e32 v33, v7
	v_mov_b32_e32 v30, v4
	s_waitcnt lgkmcnt(1)
	v_mov_b32_e32 v31, v11
	v_mov_b32_e32 v28, v8
	s_waitcnt lgkmcnt(0)
	v_mov_b32_e32 v29, v2
	v_mov_b32_e32 v7, v24
	v_mov_b32_e32 v11, v5
	;; [unrolled: 1-line block ×3, first 2 shown]
.LBB0_21:
	s_or_b64 exec, exec, s[0:1]
	s_and_saveexec_b64 s[0:1], vcc
	s_cbranch_execz .LBB0_23
; %bb.22:
	v_pk_mul_f32 v[8:9], v[18:19], v[2:3] op_sel_hi:[1,0]
	v_pk_mul_f32 v[24:25], v[14:15], v[32:33] op_sel_hi:[1,0]
	v_pk_fma_f32 v[42:43], v[18:19], v[28:29], v[8:9] op_sel:[0,0,1] op_sel_hi:[1,1,0]
	v_pk_fma_f32 v[8:9], v[18:19], v[28:29], v[8:9] op_sel:[0,0,1] op_sel_hi:[1,0,0] neg_lo:[1,0,0] neg_hi:[1,0,0]
	v_pk_mul_f32 v[4:5], v[22:23], v[10:11] op_sel:[0,1]
	v_mov_b32_e32 v43, v9
	v_pk_fma_f32 v[8:9], v[14:15], v[6:7], v[24:25] op_sel:[0,1,1] op_sel_hi:[1,1,0]
	v_pk_fma_f32 v[14:15], v[14:15], v[6:7], v[24:25] op_sel:[0,1,1] op_sel_hi:[1,1,0] neg_lo:[1,0,0] neg_hi:[1,0,0]
	v_pk_mul_f32 v[34:35], v[20:21], v[30:31] op_sel:[0,1]
	v_mov_b32_e32 v9, v15
	v_pk_fma_f32 v[14:15], v[22:23], v[30:31], v[4:5] op_sel:[0,0,1] op_sel_hi:[1,1,0]
	v_pk_fma_f32 v[4:5], v[22:23], v[30:31], v[4:5] op_sel:[0,0,1] op_sel_hi:[1,0,0] neg_lo:[1,0,0] neg_hi:[1,0,0]
	v_mov_b32_e32 v40, v27
	v_mov_b32_e32 v15, v5
	v_pk_mul_f32 v[40:41], v[38:39], v[40:41] op_sel_hi:[1,0]
	v_pk_add_f32 v[4:5], v[0:1], v[14:15] neg_lo:[0,1] neg_hi:[0,1]
	v_pk_fma_f32 v[14:15], v[20:21], v[10:11], v[34:35] op_sel:[0,0,1] op_sel_hi:[1,1,0]
	v_pk_fma_f32 v[10:11], v[20:21], v[10:11], v[34:35] op_sel:[0,0,1] op_sel_hi:[1,0,0] neg_lo:[1,0,0] neg_hi:[1,0,0]
	v_pk_mul_f32 v[2:3], v[16:17], v[2:3] op_sel:[0,1]
	v_mov_b32_e32 v15, v11
	v_pk_fma_f32 v[10:11], v[38:39], v[26:27], v[40:41] op_sel:[0,0,1] op_sel_hi:[1,1,0]
	v_pk_fma_f32 v[18:19], v[38:39], v[26:27], v[40:41] op_sel:[0,0,1] op_sel_hi:[1,0,0] neg_lo:[1,0,0] neg_hi:[1,0,0]
	v_pk_mul_f32 v[32:33], v[12:13], v[32:33] op_sel:[0,1]
	v_mov_b32_e32 v11, v19
	v_pk_fma_f32 v[18:19], v[16:17], v[28:29], v[2:3] op_sel:[0,1,1] op_sel_hi:[1,1,0]
	v_pk_fma_f32 v[2:3], v[16:17], v[28:29], v[2:3] op_sel:[0,1,1] op_sel_hi:[1,1,0] neg_lo:[1,0,0] neg_hi:[1,0,0]
	v_pk_add_f32 v[8:9], v[42:43], v[8:9] neg_lo:[0,1] neg_hi:[0,1]
	v_mov_b32_e32 v19, v3
	v_pk_fma_f32 v[2:3], v[12:13], v[6:7], v[32:33] op_sel:[0,0,1] op_sel_hi:[1,1,0]
	v_pk_fma_f32 v[6:7], v[12:13], v[6:7], v[32:33] op_sel:[0,0,1] op_sel_hi:[1,0,0] neg_lo:[1,0,0] neg_hi:[1,0,0]
	v_pk_add_f32 v[10:11], v[14:15], v[10:11] neg_lo:[0,1] neg_hi:[0,1]
	v_mov_b32_e32 v3, v7
	v_pk_add_f32 v[2:3], v[18:19], v[2:3] neg_lo:[0,1] neg_hi:[0,1]
	v_pk_fma_f32 v[0:1], v[0:1], 2.0, v[4:5] op_sel_hi:[1,0,1] neg_lo:[0,0,1] neg_hi:[0,0,1]
	v_pk_fma_f32 v[6:7], v[42:43], 2.0, v[8:9] op_sel_hi:[1,0,1] neg_lo:[0,0,1] neg_hi:[0,0,1]
	;; [unrolled: 1-line block ×4, first 2 shown]
	v_pk_add_f32 v[6:7], v[0:1], v[6:7] neg_lo:[0,1] neg_hi:[0,1]
	v_pk_add_f32 v[14:15], v[12:13], v[14:15] neg_lo:[0,1] neg_hi:[0,1]
	v_pk_fma_f32 v[0:1], v[0:1], 2.0, v[6:7] op_sel_hi:[1,0,1] neg_lo:[0,0,1] neg_hi:[0,0,1]
	v_pk_fma_f32 v[12:13], v[12:13], 2.0, v[14:15] op_sel_hi:[1,0,1] neg_lo:[0,0,1] neg_hi:[0,0,1]
	s_mov_b32 s2, 0x3f3504f3
	v_pk_add_f32 v[12:13], v[0:1], v[12:13] neg_lo:[0,1] neg_hi:[0,1]
	v_lshl_add_u32 v18, v37, 3, v54
	v_pk_fma_f32 v[0:1], v[0:1], 2.0, v[12:13] op_sel_hi:[1,0,1] neg_lo:[0,0,1] neg_hi:[0,0,1]
	ds_write_b64 v55, v[0:1]
	v_pk_add_f32 v[0:1], v[4:5], v[8:9] op_sel:[0,1] op_sel_hi:[1,0]
	v_pk_add_f32 v[8:9], v[4:5], v[8:9] op_sel:[0,1] op_sel_hi:[1,0] neg_lo:[0,1] neg_hi:[0,1]
	s_nop 0
	v_mov_b32_e32 v1, v9
	v_pk_add_f32 v[8:9], v[2:3], v[10:11] op_sel:[0,1] op_sel_hi:[1,0]
	v_pk_add_f32 v[10:11], v[2:3], v[10:11] op_sel:[0,1] op_sel_hi:[1,0] neg_lo:[0,1] neg_hi:[0,1]
	v_pk_fma_f32 v[4:5], v[4:5], 2.0, v[0:1] op_sel_hi:[1,0,1] neg_lo:[0,0,1] neg_hi:[0,0,1]
	v_mov_b32_e32 v9, v11
	v_pk_fma_f32 v[2:3], v[2:3], 2.0, v[8:9] op_sel_hi:[1,0,1] neg_lo:[0,0,1] neg_hi:[0,0,1]
	s_nop 0
	v_pk_mul_f32 v[10:11], v[2:3], s[2:3] op_sel_hi:[1,0]
	v_pk_fma_f32 v[2:3], v[2:3], s[2:3], v[4:5] op_sel_hi:[1,0,1] neg_lo:[1,0,0] neg_hi:[1,0,0]
	s_nop 0
	v_pk_add_f32 v[16:17], v[2:3], v[10:11] op_sel:[0,1] op_sel_hi:[1,0]
	v_pk_add_f32 v[2:3], v[2:3], v[10:11] op_sel:[0,1] op_sel_hi:[1,0] neg_lo:[0,1] neg_hi:[0,1]
	v_pk_add_f32 v[10:11], v[6:7], v[14:15] op_sel:[0,1] op_sel_hi:[1,0] neg_lo:[0,1] neg_hi:[0,1]
	v_mov_b32_e32 v17, v3
	v_pk_fma_f32 v[2:3], v[4:5], 2.0, v[16:17] op_sel_hi:[1,0,1] neg_lo:[0,0,1] neg_hi:[0,0,1]
	v_pk_add_f32 v[4:5], v[6:7], v[14:15] op_sel:[0,1] op_sel_hi:[1,0]
	s_nop 0
	v_mov_b32_e32 v5, v11
	v_pk_fma_f32 v[6:7], v[6:7], 2.0, v[4:5] op_sel_hi:[1,0,1] neg_lo:[0,0,1] neg_hi:[0,0,1]
	ds_write2_b64 v18, v[2:3], v[6:7] offset0:56 offset1:112
	v_pk_mul_f32 v[2:3], v[8:9], s[2:3] op_sel_hi:[1,0]
	v_pk_fma_f32 v[6:7], v[8:9], s[2:3], v[0:1] op_sel_hi:[1,0,1]
	s_nop 0
	v_pk_add_f32 v[8:9], v[6:7], v[2:3] op_sel:[0,1] op_sel_hi:[1,0]
	v_pk_add_f32 v[2:3], v[6:7], v[2:3] op_sel:[0,1] op_sel_hi:[1,0] neg_lo:[0,1] neg_hi:[0,1]
	s_nop 0
	v_mov_b32_e32 v9, v3
	v_pk_fma_f32 v[0:1], v[0:1], 2.0, v[8:9] op_sel_hi:[1,0,1] neg_lo:[0,0,1] neg_hi:[0,0,1]
	ds_write2_b64 v18, v[0:1], v[12:13] offset0:168 offset1:224
	v_add_u32_e32 v0, 0x800, v18
	ds_write2_b64 v0, v[16:17], v[4:5] offset0:24 offset1:80
	ds_write_b64 v18, v[8:9] offset:3136
.LBB0_23:
	s_or_b64 exec, exec, s[0:1]
	s_waitcnt lgkmcnt(0)
	s_barrier
	s_and_b64 exec, exec, vcc
	s_cbranch_execz .LBB0_25
; %bb.24:
	global_load_dwordx2 v[8:9], v52, s[8:9]
	global_load_dwordx2 v[10:11], v52, s[8:9] offset:448
	global_load_dwordx2 v[12:13], v52, s[8:9] offset:896
	;; [unrolled: 1-line block ×7, first 2 shown]
	v_mad_u64_u32 v[20:21], s[0:1], s6, v36, 0
	v_mad_u64_u32 v[22:23], s[2:3], s4, v37, 0
	v_lshl_add_u32 v40, v53, 3, v52
	v_mov_b32_e32 v30, v21
	v_mov_b32_e32 v32, v23
	ds_read2_b64 v[0:3], v40 offset0:56 offset1:112
	ds_read2_b64 v[4:7], v40 offset0:168 offset1:224
	ds_read_b64 v[34:35], v55
	ds_read_b64 v[38:39], v40 offset:3136
	v_mad_u64_u32 v[30:31], s[2:3], s7, v36, v[30:31]
	v_mov_b32_e32 v16, s12
	v_mov_b32_e32 v17, s13
	v_mad_u64_u32 v[32:33], s[2:3], s5, v37, v[32:33]
	v_mov_b32_e32 v21, v30
	v_mov_b32_e32 v23, v32
	v_lshl_add_u64 v[16:17], v[20:21], 3, v[16:17]
	v_mov_b32_e32 v41, 0x1c0
	v_lshl_add_u64 v[16:17], v[22:23], 3, v[16:17]
	s_mul_i32 s6, s5, 0x1c0
	v_mad_u64_u32 v[20:21], s[2:3], s4, v41, v[16:17]
	s_mov_b32 s0, 0x92492492
	v_add_u32_e32 v21, s6, v21
	s_mov_b32 s1, 0x3f624924
	v_mad_u64_u32 v[22:23], s[2:3], s4, v41, v[20:21]
	v_add_u32_e32 v23, s6, v23
	v_mad_u64_u32 v[30:31], s[2:3], s4, v41, v[22:23]
	v_add_u32_e32 v31, s6, v31
	s_waitcnt vmcnt(7) lgkmcnt(1)
	v_mul_f32_e32 v32, v35, v9
	v_mul_f32_e32 v9, v34, v9
	s_waitcnt vmcnt(6)
	v_mul_f32_e32 v33, v1, v11
	v_mul_f32_e32 v11, v0, v11
	s_waitcnt vmcnt(5)
	;; [unrolled: 3-line block ×3, first 2 shown]
	v_mul_f32_e32 v37, v5, v15
	v_mul_f32_e32 v15, v4, v15
	v_fmac_f32_e32 v32, v34, v8
	v_fma_f32 v8, v8, v35, -v9
	v_fmac_f32_e32 v33, v0, v10
	v_fma_f32 v9, v10, v1, -v11
	;; [unrolled: 2-line block ×4, first 2 shown]
	v_cvt_f64_f32_e32 v[0:1], v32
	v_cvt_f64_f32_e32 v[2:3], v8
	;; [unrolled: 1-line block ×8, first 2 shown]
	v_mul_f64 v[0:1], v[0:1], s[0:1]
	v_mul_f64 v[2:3], v[2:3], s[0:1]
	;; [unrolled: 1-line block ×8, first 2 shown]
	v_cvt_f32_f64_e32 v0, v[0:1]
	v_cvt_f32_f64_e32 v1, v[2:3]
	;; [unrolled: 1-line block ×8, first 2 shown]
	global_store_dwordx2 v[16:17], v[0:1], off
	global_store_dwordx2 v[20:21], v[2:3], off
	global_store_dwordx2 v[22:23], v[4:5], off
	global_store_dwordx2 v[30:31], v[8:9], off
	s_waitcnt vmcnt(7)
	v_mul_f32_e32 v0, v7, v19
	v_fmac_f32_e32 v0, v6, v18
	v_cvt_f64_f32_e32 v[0:1], v0
	v_mul_f64 v[0:1], v[0:1], s[0:1]
	v_cvt_f32_f64_e32 v4, v[0:1]
	v_mul_f32_e32 v0, v6, v19
	v_fma_f32 v0, v18, v7, -v0
	v_cvt_f64_f32_e32 v[0:1], v0
	v_mul_f64 v[0:1], v[0:1], s[0:1]
	v_cvt_f32_f64_e32 v5, v[0:1]
	v_add_u32_e32 v0, 0x800, v40
	ds_read2_b64 v[0:3], v0 offset0:24 offset1:80
	v_mad_u64_u32 v[6:7], s[2:3], s4, v41, v[30:31]
	v_add_u32_e32 v7, s6, v7
	global_store_dwordx2 v[6:7], v[4:5], off
	s_waitcnt vmcnt(7) lgkmcnt(0)
	v_mul_f32_e32 v4, v1, v25
	v_fmac_f32_e32 v4, v0, v24
	v_mul_f32_e32 v0, v0, v25
	v_fma_f32 v0, v24, v1, -v0
	v_cvt_f64_f32_e32 v[4:5], v4
	v_cvt_f64_f32_e32 v[0:1], v0
	v_mul_f64 v[4:5], v[4:5], s[0:1]
	v_mul_f64 v[0:1], v[0:1], s[0:1]
	v_cvt_f32_f64_e32 v4, v[4:5]
	v_cvt_f32_f64_e32 v5, v[0:1]
	v_mad_u64_u32 v[0:1], s[2:3], s4, v41, v[6:7]
	v_add_u32_e32 v1, s6, v1
	global_store_dwordx2 v[0:1], v[4:5], off
	s_waitcnt vmcnt(7)
	v_mul_f32_e32 v4, v3, v27
	v_fmac_f32_e32 v4, v2, v26
	v_mul_f32_e32 v2, v2, v27
	v_fma_f32 v2, v26, v3, -v2
	v_cvt_f64_f32_e32 v[4:5], v4
	v_cvt_f64_f32_e32 v[2:3], v2
	v_mul_f64 v[4:5], v[4:5], s[0:1]
	v_mul_f64 v[2:3], v[2:3], s[0:1]
	v_cvt_f32_f64_e32 v4, v[4:5]
	v_cvt_f32_f64_e32 v5, v[2:3]
	s_waitcnt vmcnt(6)
	v_mul_f32_e32 v2, v39, v29
	v_fmac_f32_e32 v2, v38, v28
	v_cvt_f64_f32_e32 v[2:3], v2
	v_mul_f64 v[2:3], v[2:3], s[0:1]
	v_mad_u64_u32 v[0:1], s[2:3], s4, v41, v[0:1]
	v_cvt_f32_f64_e32 v2, v[2:3]
	v_mul_f32_e32 v3, v38, v29
	v_add_u32_e32 v1, s6, v1
	v_fma_f32 v3, v28, v39, -v3
	global_store_dwordx2 v[0:1], v[4:5], off
	v_cvt_f64_f32_e32 v[4:5], v3
	v_mul_f64 v[4:5], v[4:5], s[0:1]
	v_mad_u64_u32 v[0:1], s[0:1], s4, v41, v[0:1]
	v_cvt_f32_f64_e32 v3, v[4:5]
	v_add_u32_e32 v1, s6, v1
	global_store_dwordx2 v[0:1], v[2:3], off
.LBB0_25:
	s_endpgm
	.section	.rodata,"a",@progbits
	.p2align	6, 0x0
	.amdhsa_kernel bluestein_single_back_len448_dim1_sp_op_CI_CI
		.amdhsa_group_segment_fixed_size 7168
		.amdhsa_private_segment_fixed_size 0
		.amdhsa_kernarg_size 104
		.amdhsa_user_sgpr_count 2
		.amdhsa_user_sgpr_dispatch_ptr 0
		.amdhsa_user_sgpr_queue_ptr 0
		.amdhsa_user_sgpr_kernarg_segment_ptr 1
		.amdhsa_user_sgpr_dispatch_id 0
		.amdhsa_user_sgpr_kernarg_preload_length 0
		.amdhsa_user_sgpr_kernarg_preload_offset 0
		.amdhsa_user_sgpr_private_segment_size 0
		.amdhsa_uses_dynamic_stack 0
		.amdhsa_enable_private_segment 0
		.amdhsa_system_sgpr_workgroup_id_x 1
		.amdhsa_system_sgpr_workgroup_id_y 0
		.amdhsa_system_sgpr_workgroup_id_z 0
		.amdhsa_system_sgpr_workgroup_info 0
		.amdhsa_system_vgpr_workitem_id 0
		.amdhsa_next_free_vgpr 87
		.amdhsa_next_free_sgpr 22
		.amdhsa_accum_offset 88
		.amdhsa_reserve_vcc 1
		.amdhsa_float_round_mode_32 0
		.amdhsa_float_round_mode_16_64 0
		.amdhsa_float_denorm_mode_32 3
		.amdhsa_float_denorm_mode_16_64 3
		.amdhsa_dx10_clamp 1
		.amdhsa_ieee_mode 1
		.amdhsa_fp16_overflow 0
		.amdhsa_tg_split 0
		.amdhsa_exception_fp_ieee_invalid_op 0
		.amdhsa_exception_fp_denorm_src 0
		.amdhsa_exception_fp_ieee_div_zero 0
		.amdhsa_exception_fp_ieee_overflow 0
		.amdhsa_exception_fp_ieee_underflow 0
		.amdhsa_exception_fp_ieee_inexact 0
		.amdhsa_exception_int_div_zero 0
	.end_amdhsa_kernel
	.text
.Lfunc_end0:
	.size	bluestein_single_back_len448_dim1_sp_op_CI_CI, .Lfunc_end0-bluestein_single_back_len448_dim1_sp_op_CI_CI
                                        ; -- End function
	.section	.AMDGPU.csdata,"",@progbits
; Kernel info:
; codeLenInByte = 6632
; NumSgprs: 28
; NumVgprs: 87
; NumAgprs: 0
; TotalNumVgprs: 87
; ScratchSize: 0
; MemoryBound: 0
; FloatMode: 240
; IeeeMode: 1
; LDSByteSize: 7168 bytes/workgroup (compile time only)
; SGPRBlocks: 3
; VGPRBlocks: 10
; NumSGPRsForWavesPerEU: 28
; NumVGPRsForWavesPerEU: 87
; AccumOffset: 88
; Occupancy: 5
; WaveLimiterHint : 1
; COMPUTE_PGM_RSRC2:SCRATCH_EN: 0
; COMPUTE_PGM_RSRC2:USER_SGPR: 2
; COMPUTE_PGM_RSRC2:TRAP_HANDLER: 0
; COMPUTE_PGM_RSRC2:TGID_X_EN: 1
; COMPUTE_PGM_RSRC2:TGID_Y_EN: 0
; COMPUTE_PGM_RSRC2:TGID_Z_EN: 0
; COMPUTE_PGM_RSRC2:TIDIG_COMP_CNT: 0
; COMPUTE_PGM_RSRC3_GFX90A:ACCUM_OFFSET: 21
; COMPUTE_PGM_RSRC3_GFX90A:TG_SPLIT: 0
	.text
	.p2alignl 6, 3212836864
	.fill 256, 4, 3212836864
	.type	__hip_cuid_ffe3fe21b9097958,@object ; @__hip_cuid_ffe3fe21b9097958
	.section	.bss,"aw",@nobits
	.globl	__hip_cuid_ffe3fe21b9097958
__hip_cuid_ffe3fe21b9097958:
	.byte	0                               ; 0x0
	.size	__hip_cuid_ffe3fe21b9097958, 1

	.ident	"AMD clang version 19.0.0git (https://github.com/RadeonOpenCompute/llvm-project roc-6.4.0 25133 c7fe45cf4b819c5991fe208aaa96edf142730f1d)"
	.section	".note.GNU-stack","",@progbits
	.addrsig
	.addrsig_sym __hip_cuid_ffe3fe21b9097958
	.amdgpu_metadata
---
amdhsa.kernels:
  - .agpr_count:     0
    .args:
      - .actual_access:  read_only
        .address_space:  global
        .offset:         0
        .size:           8
        .value_kind:     global_buffer
      - .actual_access:  read_only
        .address_space:  global
        .offset:         8
        .size:           8
        .value_kind:     global_buffer
      - .actual_access:  read_only
        .address_space:  global
        .offset:         16
        .size:           8
        .value_kind:     global_buffer
      - .actual_access:  read_only
        .address_space:  global
        .offset:         24
        .size:           8
        .value_kind:     global_buffer
      - .actual_access:  read_only
        .address_space:  global
        .offset:         32
        .size:           8
        .value_kind:     global_buffer
      - .offset:         40
        .size:           8
        .value_kind:     by_value
      - .address_space:  global
        .offset:         48
        .size:           8
        .value_kind:     global_buffer
      - .address_space:  global
        .offset:         56
        .size:           8
        .value_kind:     global_buffer
      - .address_space:  global
        .offset:         64
        .size:           8
        .value_kind:     global_buffer
      - .address_space:  global
        .offset:         72
        .size:           8
        .value_kind:     global_buffer
      - .offset:         80
        .size:           4
        .value_kind:     by_value
      - .address_space:  global
        .offset:         88
        .size:           8
        .value_kind:     global_buffer
      - .address_space:  global
        .offset:         96
        .size:           8
        .value_kind:     global_buffer
    .group_segment_fixed_size: 7168
    .kernarg_segment_align: 8
    .kernarg_segment_size: 104
    .language:       OpenCL C
    .language_version:
      - 2
      - 0
    .max_flat_workgroup_size: 128
    .name:           bluestein_single_back_len448_dim1_sp_op_CI_CI
    .private_segment_fixed_size: 0
    .sgpr_count:     28
    .sgpr_spill_count: 0
    .symbol:         bluestein_single_back_len448_dim1_sp_op_CI_CI.kd
    .uniform_work_group_size: 1
    .uses_dynamic_stack: false
    .vgpr_count:     87
    .vgpr_spill_count: 0
    .wavefront_size: 64
amdhsa.target:   amdgcn-amd-amdhsa--gfx950
amdhsa.version:
  - 1
  - 2
...

	.end_amdgpu_metadata
